;; amdgpu-corpus repo=zjin-lcf/HeCBench kind=compiled arch=gfx90a opt=O3
	.text
	.amdgcn_target "amdgcn-amd-amdhsa--gfx90a"
	.amdhsa_code_object_version 6
	.protected	_Z13k_cube_selectiiiPKiPi ; -- Begin function _Z13k_cube_selectiiiPKiPi
	.globl	_Z13k_cube_selectiiiPKiPi
	.p2align	8
	.type	_Z13k_cube_selectiiiPKiPi,@function
_Z13k_cube_selectiiiPKiPi:              ; @_Z13k_cube_selectiiiPKiPi
; %bb.0:
	s_load_dwordx2 s[8:9], s[4:5], 0x4
	s_waitcnt lgkmcnt(0)
	v_cmp_gt_i32_e32 vcc, s8, v0
	s_and_saveexec_b64 s[0:1], vcc
	s_cbranch_execz .LBB0_11
; %bb.1:
	s_load_dwordx4 s[0:3], s[4:5], 0x10
	s_mul_i32 s10, s6, s8
	s_mul_i32 s6, s10, 3
	s_ashr_i32 s7, s6, 31
	s_lshl_b64 s[6:7], s[6:7], 2
	s_waitcnt lgkmcnt(0)
	s_add_u32 s20, s0, s6
	s_load_dword s4, s[4:5], 0x2c
	s_addc_u32 s21, s1, s7
	s_lshl_b32 s0, s10, 3
	s_ashr_i32 s1, s0, 31
	s_lshl_b64 s[0:1], s[0:1], 2
	s_add_u32 s22, s2, s0
	s_addc_u32 s12, s3, s1
	s_waitcnt lgkmcnt(0)
	s_and_b32 s23, s4, 0xffff
	s_mov_b32 s0, s9
	s_mov_b32 s1, s9
	;; [unrolled: 1-line block ×8, first 2 shown]
	s_mov_b64 s[10:11], 0
	v_mov_b32_e32 v13, s21
	v_mov_b32_e32 v17, s12
	s_mov_b32 s13, 0
	v_mov_b32_e32 v20, 0
	s_branch .LBB0_3
.LBB0_2:                                ;   in Loop: Header=BB0_3 Depth=1
	v_add_u32_e32 v0, s23, v0
	v_cmp_le_i32_e32 vcc, s8, v0
	s_or_b64 s[10:11], vcc, s[10:11]
	s_andn2_b64 exec, exec, s[10:11]
	s_cbranch_execz .LBB0_11
.LBB0_3:                                ; =>This Loop Header: Depth=1
                                        ;     Child Loop BB0_7 Depth 2
	v_lshl_add_u32 v2, v0, 1, v0
	v_ashrrev_i32_e32 v3, 31, v2
	v_lshlrev_b64 v[2:3], 2, v[2:3]
	v_add_co_u32_e32 v2, vcc, s20, v2
	v_addc_co_u32_e32 v3, vcc, v13, v3, vcc
	global_load_dwordx3 v[10:12], v[2:3], off
	v_lshlrev_b32_e32 v18, 3, v0
	v_ashrrev_i32_e32 v19, 31, v18
	v_lshlrev_b64 v[2:3], 2, v[18:19]
	v_add_co_u32_e32 v4, vcc, s22, v2
	v_addc_co_u32_e32 v5, vcc, v17, v3, vcc
	v_mov_b32_e32 v1, v0
	v_mov_b32_e32 v2, v0
	;; [unrolled: 1-line block ×3, first 2 shown]
	global_store_dwordx4 v[4:5], v[0:3], off
	global_store_dwordx4 v[4:5], v[0:3], off offset:16
	v_pk_mov_b32 v[8:9], s[6:7], s[6:7] op_sel:[0,1]
	v_pk_mov_b32 v[6:7], s[4:5], s[4:5] op_sel:[0,1]
	;; [unrolled: 1-line block ×4, first 2 shown]
	s_mov_b32 s12, s13
	s_mov_b32 s24, s13
	s_branch .LBB0_7
.LBB0_4:                                ;   in Loop: Header=BB0_7 Depth=2
	s_or_b64 exec, exec, s[18:19]
.LBB0_5:                                ;   in Loop: Header=BB0_7 Depth=2
	s_or_b64 exec, exec, s[16:17]
.LBB0_6:                                ;   in Loop: Header=BB0_7 Depth=2
	s_or_b64 exec, exec, s[14:15]
	s_add_i32 s24, s24, 1
	s_add_i32 s12, s12, 3
	s_cmp_eq_u32 s8, s24
	s_cbranch_scc1 .LBB0_2
.LBB0_7:                                ;   Parent Loop BB0_3 Depth=1
                                        ; =>  This Inner Loop Header: Depth=2
	v_cmp_ne_u32_e32 vcc, s24, v0
	s_and_saveexec_b64 s[14:15], vcc
	s_cbranch_execz .LBB0_6
; %bb.8:                                ;   in Loop: Header=BB0_7 Depth=2
	s_lshl_b64 s[16:17], s[12:13], 2
	s_add_u32 s16, s20, s16
	s_addc_u32 s17, s21, s17
	global_load_dwordx3 v[14:16], v20, s[16:17]
	s_waitcnt vmcnt(0)
	v_sub_u32_e32 v1, v10, v14
	v_sub_u32_e32 v19, v11, v15
	;; [unrolled: 1-line block ×3, first 2 shown]
	v_mul_lo_u32 v1, v1, v1
	v_mul_lo_u32 v19, v19, v19
	;; [unrolled: 1-line block ×3, first 2 shown]
	v_add3_u32 v1, v19, v1, v21
	v_cmp_ge_i32_e32 vcc, s9, v1
	s_and_saveexec_b64 s[16:17], vcc
	s_cbranch_execz .LBB0_5
; %bb.9:                                ;   in Loop: Header=BB0_7 Depth=2
	v_cmp_lt_i32_e32 vcc, v12, v16
	v_cndmask_b32_e64 v16, 0, 1, vcc
	v_cmp_gt_i32_e32 vcc, v14, v10
	v_cndmask_b32_e64 v14, 0, 1, vcc
	v_cmp_gt_i32_e32 vcc, v15, v11
	v_cndmask_b32_e64 v15, 0, 1, vcc
	v_lshlrev_b32_e32 v14, 2, v14
	v_lshlrev_b32_e32 v15, 1, v15
	v_or3_b32 v14, v15, v14, v16
	v_cmp_eq_u32_e32 vcc, 1, v14
	v_cndmask_b32_e32 v15, v2, v3, vcc
	v_cmp_eq_u32_e32 vcc, 2, v14
	v_cndmask_b32_e32 v15, v15, v4, vcc
	;; [unrolled: 2-line block ×7, first 2 shown]
	v_cmp_lt_i32_e32 vcc, v1, v15
	s_and_saveexec_b64 s[18:19], vcc
	s_cbranch_execz .LBB0_4
; %bb.10:                               ;   in Loop: Header=BB0_7 Depth=2
	v_cmp_eq_u32_e32 vcc, 7, v14
	v_cndmask_b32_e32 v9, v9, v1, vcc
	v_cmp_eq_u32_e32 vcc, 6, v14
	v_cndmask_b32_e32 v8, v8, v1, vcc
	v_cmp_eq_u32_e32 vcc, 5, v14
	v_cndmask_b32_e32 v7, v7, v1, vcc
	v_cmp_eq_u32_e32 vcc, 4, v14
	v_cndmask_b32_e32 v6, v6, v1, vcc
	v_cmp_eq_u32_e32 vcc, 3, v14
	v_cndmask_b32_e32 v5, v5, v1, vcc
	v_cmp_eq_u32_e32 vcc, 2, v14
	v_cndmask_b32_e32 v4, v4, v1, vcc
	v_cmp_eq_u32_e32 vcc, 1, v14
	v_cndmask_b32_e32 v3, v3, v1, vcc
	v_cmp_eq_u32_e32 vcc, 0, v14
	v_or_b32_e32 v14, v14, v18
	v_ashrrev_i32_e32 v15, 31, v14
	v_lshlrev_b64 v[14:15], 2, v[14:15]
	v_cndmask_b32_e32 v2, v2, v1, vcc
	v_add_co_u32_e32 v14, vcc, s22, v14
	v_addc_co_u32_e32 v15, vcc, v17, v15, vcc
	v_mov_b32_e32 v1, s24
	global_store_dword v[14:15], v1, off
	s_branch .LBB0_4
.LBB0_11:
	s_endpgm
	.section	.rodata,"a",@progbits
	.p2align	6, 0x0
	.amdhsa_kernel _Z13k_cube_selectiiiPKiPi
		.amdhsa_group_segment_fixed_size 0
		.amdhsa_private_segment_fixed_size 0
		.amdhsa_kernarg_size 288
		.amdhsa_user_sgpr_count 6
		.amdhsa_user_sgpr_private_segment_buffer 1
		.amdhsa_user_sgpr_dispatch_ptr 0
		.amdhsa_user_sgpr_queue_ptr 0
		.amdhsa_user_sgpr_kernarg_segment_ptr 1
		.amdhsa_user_sgpr_dispatch_id 0
		.amdhsa_user_sgpr_flat_scratch_init 0
		.amdhsa_user_sgpr_kernarg_preload_length 0
		.amdhsa_user_sgpr_kernarg_preload_offset 0
		.amdhsa_user_sgpr_private_segment_size 0
		.amdhsa_uses_dynamic_stack 0
		.amdhsa_system_sgpr_private_segment_wavefront_offset 0
		.amdhsa_system_sgpr_workgroup_id_x 1
		.amdhsa_system_sgpr_workgroup_id_y 0
		.amdhsa_system_sgpr_workgroup_id_z 0
		.amdhsa_system_sgpr_workgroup_info 0
		.amdhsa_system_vgpr_workitem_id 0
		.amdhsa_next_free_vgpr 22
		.amdhsa_next_free_sgpr 25
		.amdhsa_accum_offset 24
		.amdhsa_reserve_vcc 1
		.amdhsa_reserve_flat_scratch 0
		.amdhsa_float_round_mode_32 0
		.amdhsa_float_round_mode_16_64 0
		.amdhsa_float_denorm_mode_32 3
		.amdhsa_float_denorm_mode_16_64 3
		.amdhsa_dx10_clamp 1
		.amdhsa_ieee_mode 1
		.amdhsa_fp16_overflow 0
		.amdhsa_tg_split 0
		.amdhsa_exception_fp_ieee_invalid_op 0
		.amdhsa_exception_fp_denorm_src 0
		.amdhsa_exception_fp_ieee_div_zero 0
		.amdhsa_exception_fp_ieee_overflow 0
		.amdhsa_exception_fp_ieee_underflow 0
		.amdhsa_exception_fp_ieee_inexact 0
		.amdhsa_exception_int_div_zero 0
	.end_amdhsa_kernel
	.text
.Lfunc_end0:
	.size	_Z13k_cube_selectiiiPKiPi, .Lfunc_end0-_Z13k_cube_selectiiiPKiPi
                                        ; -- End function
	.section	.AMDGPU.csdata,"",@progbits
; Kernel info:
; codeLenInByte = 656
; NumSgprs: 29
; NumVgprs: 22
; NumAgprs: 0
; TotalNumVgprs: 22
; ScratchSize: 0
; MemoryBound: 0
; FloatMode: 240
; IeeeMode: 1
; LDSByteSize: 0 bytes/workgroup (compile time only)
; SGPRBlocks: 3
; VGPRBlocks: 2
; NumSGPRsForWavesPerEU: 29
; NumVGPRsForWavesPerEU: 22
; AccumOffset: 24
; Occupancy: 8
; WaveLimiterHint : 0
; COMPUTE_PGM_RSRC2:SCRATCH_EN: 0
; COMPUTE_PGM_RSRC2:USER_SGPR: 6
; COMPUTE_PGM_RSRC2:TRAP_HANDLER: 0
; COMPUTE_PGM_RSRC2:TGID_X_EN: 1
; COMPUTE_PGM_RSRC2:TGID_Y_EN: 0
; COMPUTE_PGM_RSRC2:TGID_Z_EN: 0
; COMPUTE_PGM_RSRC2:TIDIG_COMP_CNT: 0
; COMPUTE_PGM_RSRC3_GFX90A:ACCUM_OFFSET: 5
; COMPUTE_PGM_RSRC3_GFX90A:TG_SPLIT: 0
	.text
	.protected	_Z17k_cube_select_twoiiiPKiPi ; -- Begin function _Z17k_cube_select_twoiiiPKiPi
	.globl	_Z17k_cube_select_twoiiiPKiPi
	.p2align	8
	.type	_Z17k_cube_select_twoiiiPKiPi,@function
_Z17k_cube_select_twoiiiPKiPi:          ; @_Z17k_cube_select_twoiiiPKiPi
; %bb.0:
	s_load_dwordx2 s[16:17], s[4:5], 0x4
	s_waitcnt lgkmcnt(0)
	v_cmp_gt_i32_e32 vcc, s16, v0
	s_and_saveexec_b64 s[0:1], vcc
	s_cbranch_execz .LBB1_15
; %bb.1:
	s_load_dwordx4 s[0:3], s[4:5], 0x10
	s_mul_i32 s8, s6, s16
	s_mul_i32 s6, s8, 3
	s_ashr_i32 s7, s6, 31
	s_lshl_b64 s[6:7], s[6:7], 2
	s_waitcnt lgkmcnt(0)
	s_add_u32 s33, s0, s6
	s_load_dword s4, s[4:5], 0x2c
	s_addc_u32 s34, s1, s7
	s_lshl_b32 s0, s8, 4
	s_ashr_i32 s1, s0, 31
	s_lshl_b64 s[0:1], s[0:1], 2
	s_add_u32 s35, s2, s0
	s_addc_u32 s36, s3, s1
	s_waitcnt lgkmcnt(0)
	s_and_b32 s37, s4, 0xffff
	s_mov_b32 s0, s17
	s_mov_b32 s1, s17
	;; [unrolled: 1-line block ×16, first 2 shown]
	s_mov_b64 s[18:19], 0
	v_mov_b32_e32 v21, s34
	v_mov_b32_e32 v25, s36
	s_mov_b32 s21, 0
	v_mov_b32_e32 v30, 0
	s_branch .LBB1_3
.LBB1_2:                                ;   in Loop: Header=BB1_3 Depth=1
	v_add_u32_e32 v0, s37, v0
	v_cmp_le_i32_e32 vcc, s16, v0
	s_or_b64 s[18:19], vcc, s[18:19]
	s_andn2_b64 exec, exec, s[18:19]
	s_cbranch_execz .LBB1_15
.LBB1_3:                                ; =>This Loop Header: Depth=1
                                        ;     Child Loop BB1_8 Depth 2
	v_lshl_add_u32 v2, v0, 1, v0
	v_ashrrev_i32_e32 v3, 31, v2
	v_lshlrev_b64 v[2:3], 2, v[2:3]
	v_add_co_u32_e32 v2, vcc, s33, v2
	v_addc_co_u32_e32 v3, vcc, v21, v3, vcc
	global_load_dwordx3 v[18:20], v[2:3], off
	v_lshlrev_b32_e32 v26, 4, v0
	v_ashrrev_i32_e32 v27, 31, v26
	v_lshlrev_b64 v[2:3], 2, v[26:27]
	v_add_co_u32_e32 v4, vcc, s35, v2
	v_addc_co_u32_e32 v5, vcc, v25, v3, vcc
	v_mov_b32_e32 v1, v0
	v_mov_b32_e32 v2, v0
	;; [unrolled: 1-line block ×3, first 2 shown]
	global_store_dwordx4 v[4:5], v[0:3], off
	global_store_dwordx4 v[4:5], v[0:3], off offset:16
	global_store_dwordx4 v[4:5], v[0:3], off offset:32
	;; [unrolled: 1-line block ×3, first 2 shown]
	v_pk_mov_b32 v[16:17], s[14:15], s[14:15] op_sel:[0,1]
	v_pk_mov_b32 v[14:15], s[12:13], s[12:13] op_sel:[0,1]
	;; [unrolled: 1-line block ×8, first 2 shown]
	s_mov_b32 s20, s21
	s_mov_b32 s38, s21
	s_branch .LBB1_8
.LBB1_4:                                ;   in Loop: Header=BB1_8 Depth=2
	s_or_b64 exec, exec, s[28:29]
	v_or_b32_e32 v28, v31, v28
	v_ashrrev_i32_e32 v29, 31, v28
	v_lshlrev_b64 v[28:29], 2, v[28:29]
	v_mov_b32_e32 v23, s36
	v_add_co_u32_e32 v28, vcc, s35, v28
	v_addc_co_u32_e32 v29, vcc, v23, v29, vcc
	v_cmp_eq_u32_e32 vcc, 15, v22
	v_cndmask_b32_e32 v17, v17, v1, vcc
	v_cmp_eq_u32_e32 vcc, 14, v22
	v_cndmask_b32_e32 v16, v16, v1, vcc
	;; [unrolled: 2-line block ×15, first 2 shown]
	v_cmp_eq_u32_e32 vcc, 0, v22
	v_mov_b32_e32 v23, s38
	v_cndmask_b32_e32 v2, v2, v1, vcc
	global_store_dword v[28:29], v23, off
.LBB1_5:                                ;   in Loop: Header=BB1_8 Depth=2
	s_or_b64 exec, exec, s[26:27]
.LBB1_6:                                ;   in Loop: Header=BB1_8 Depth=2
	s_or_b64 exec, exec, s[24:25]
.LBB1_7:                                ;   in Loop: Header=BB1_8 Depth=2
	s_or_b64 exec, exec, s[22:23]
	s_add_i32 s38, s38, 1
	s_add_i32 s20, s20, 3
	s_cmp_eq_u32 s16, s38
	s_cbranch_scc1 .LBB1_2
.LBB1_8:                                ;   Parent Loop BB1_3 Depth=1
                                        ; =>  This Inner Loop Header: Depth=2
	v_cmp_ne_u32_e32 vcc, s38, v0
	s_and_saveexec_b64 s[22:23], vcc
	s_cbranch_execz .LBB1_7
; %bb.9:                                ;   in Loop: Header=BB1_8 Depth=2
	s_lshl_b64 s[24:25], s[20:21], 2
	s_add_u32 s24, s33, s24
	s_addc_u32 s25, s34, s25
	global_load_dwordx3 v[22:24], v30, s[24:25]
	s_waitcnt vmcnt(0)
	v_sub_u32_e32 v1, v18, v22
	v_sub_u32_e32 v27, v19, v23
	;; [unrolled: 1-line block ×3, first 2 shown]
	v_mul_lo_u32 v1, v1, v1
	v_mul_lo_u32 v27, v27, v27
	;; [unrolled: 1-line block ×3, first 2 shown]
	v_add3_u32 v1, v27, v1, v28
	v_cmp_ge_i32_e32 vcc, s17, v1
	s_and_saveexec_b64 s[24:25], vcc
	s_cbranch_execz .LBB1_6
; %bb.10:                               ;   in Loop: Header=BB1_8 Depth=2
	v_cmp_gt_i32_e32 vcc, v22, v18
	v_cndmask_b32_e64 v22, 0, 1, vcc
	v_cmp_gt_i32_e32 vcc, v23, v19
	v_cndmask_b32_e64 v23, 0, 1, vcc
	v_cmp_lt_i32_e32 vcc, v20, v24
	v_cndmask_b32_e64 v24, 0, 1, vcc
	v_lshlrev_b32_e32 v22, 3, v22
	v_lshlrev_b32_e32 v23, 2, v23
	;; [unrolled: 1-line block ×3, first 2 shown]
	v_or3_b32 v24, v23, v22, v24
	v_cmp_eq_u32_e32 vcc, 1, v24
	v_cndmask_b32_e32 v22, v2, v3, vcc
	v_cmp_eq_u32_e32 vcc, 2, v24
	v_cndmask_b32_e32 v22, v22, v4, vcc
	;; [unrolled: 2-line block ×15, first 2 shown]
	v_cmp_lt_i32_e64 s[30:31], v1, v27
	v_cmp_ge_i32_e32 vcc, v1, v27
	v_mov_b32_e32 v31, 0
	s_mov_b64 s[28:29], s[30:31]
	v_pk_mov_b32 v[22:23], v[24:25], v[24:25] op_sel:[0,1]
	s_and_saveexec_b64 s[26:27], vcc
	s_cbranch_execz .LBB1_12
; %bb.11:                               ;   in Loop: Header=BB1_8 Depth=2
	v_or_b32_e32 v22, 1, v24
	v_cmp_eq_u32_e32 vcc, 1, v22
	v_cndmask_b32_e32 v23, v2, v3, vcc
	v_cmp_eq_u32_e32 vcc, 2, v22
	v_cndmask_b32_e32 v23, v23, v4, vcc
	v_cmp_eq_u32_e32 vcc, 3, v22
	v_cndmask_b32_e32 v23, v23, v5, vcc
	v_cmp_eq_u32_e32 vcc, 4, v22
	v_cndmask_b32_e32 v23, v23, v6, vcc
	v_cmp_eq_u32_e32 vcc, 5, v22
	v_cndmask_b32_e32 v23, v23, v7, vcc
	v_cmp_eq_u32_e32 vcc, 6, v22
	v_cndmask_b32_e32 v23, v23, v8, vcc
	v_cmp_eq_u32_e32 vcc, 7, v22
	v_cndmask_b32_e32 v23, v23, v9, vcc
	v_cmp_eq_u32_e32 vcc, 8, v22
	v_cndmask_b32_e32 v23, v23, v10, vcc
	v_cmp_eq_u32_e32 vcc, 9, v22
	v_cndmask_b32_e32 v23, v23, v11, vcc
	v_cmp_eq_u32_e32 vcc, 10, v22
	v_cndmask_b32_e32 v23, v23, v12, vcc
	v_cmp_eq_u32_e32 vcc, 11, v22
	v_cndmask_b32_e32 v23, v23, v13, vcc
	v_cmp_eq_u32_e32 vcc, 12, v22
	v_cndmask_b32_e32 v23, v23, v14, vcc
	v_cmp_eq_u32_e32 vcc, 13, v22
	v_cndmask_b32_e32 v23, v23, v15, vcc
	v_cmp_eq_u32_e32 vcc, 14, v22
	v_cndmask_b32_e32 v23, v23, v16, vcc
	v_cmp_eq_u32_e32 vcc, 15, v22
	v_cndmask_b32_e32 v23, v23, v17, vcc
	v_cmp_lt_i32_e32 vcc, v1, v23
	s_andn2_b64 s[28:29], s[30:31], exec
	s_and_b64 s[40:41], vcc, exec
	v_mov_b32_e32 v31, 1
	s_or_b64 s[28:29], s[28:29], s[40:41]
.LBB1_12:                               ;   in Loop: Header=BB1_8 Depth=2
	s_or_b64 exec, exec, s[26:27]
	s_and_saveexec_b64 s[26:27], s[28:29]
	s_cbranch_execz .LBB1_5
; %bb.13:                               ;   in Loop: Header=BB1_8 Depth=2
	v_or_b32_e32 v28, v24, v26
	s_and_saveexec_b64 s[28:29], s[30:31]
	s_cbranch_execz .LBB1_4
; %bb.14:                               ;   in Loop: Header=BB1_8 Depth=2
	v_ashrrev_i32_e32 v29, 31, v28
	v_lshlrev_b64 v[32:33], 2, v[28:29]
	v_mov_b32_e32 v23, s36
	v_add_co_u32_e32 v32, vcc, s35, v32
	v_addc_co_u32_e32 v33, vcc, v23, v33, vcc
	global_load_dword v23, v[32:33], off
	v_or_b32_e32 v24, 1, v24
	v_cmp_eq_u32_e32 vcc, 15, v24
	v_cndmask_b32_e32 v17, v17, v27, vcc
	v_cmp_eq_u32_e32 vcc, 14, v24
	v_cndmask_b32_e32 v16, v16, v27, vcc
	;; [unrolled: 2-line block ×16, first 2 shown]
	s_waitcnt vmcnt(0)
	global_store_dword v[32:33], v23, off offset:4
	s_branch .LBB1_4
.LBB1_15:
	s_endpgm
	.section	.rodata,"a",@progbits
	.p2align	6, 0x0
	.amdhsa_kernel _Z17k_cube_select_twoiiiPKiPi
		.amdhsa_group_segment_fixed_size 0
		.amdhsa_private_segment_fixed_size 0
		.amdhsa_kernarg_size 288
		.amdhsa_user_sgpr_count 6
		.amdhsa_user_sgpr_private_segment_buffer 1
		.amdhsa_user_sgpr_dispatch_ptr 0
		.amdhsa_user_sgpr_queue_ptr 0
		.amdhsa_user_sgpr_kernarg_segment_ptr 1
		.amdhsa_user_sgpr_dispatch_id 0
		.amdhsa_user_sgpr_flat_scratch_init 0
		.amdhsa_user_sgpr_kernarg_preload_length 0
		.amdhsa_user_sgpr_kernarg_preload_offset 0
		.amdhsa_user_sgpr_private_segment_size 0
		.amdhsa_uses_dynamic_stack 0
		.amdhsa_system_sgpr_private_segment_wavefront_offset 0
		.amdhsa_system_sgpr_workgroup_id_x 1
		.amdhsa_system_sgpr_workgroup_id_y 0
		.amdhsa_system_sgpr_workgroup_id_z 0
		.amdhsa_system_sgpr_workgroup_info 0
		.amdhsa_system_vgpr_workitem_id 0
		.amdhsa_next_free_vgpr 34
		.amdhsa_next_free_sgpr 42
		.amdhsa_accum_offset 36
		.amdhsa_reserve_vcc 1
		.amdhsa_reserve_flat_scratch 0
		.amdhsa_float_round_mode_32 0
		.amdhsa_float_round_mode_16_64 0
		.amdhsa_float_denorm_mode_32 3
		.amdhsa_float_denorm_mode_16_64 3
		.amdhsa_dx10_clamp 1
		.amdhsa_ieee_mode 1
		.amdhsa_fp16_overflow 0
		.amdhsa_tg_split 0
		.amdhsa_exception_fp_ieee_invalid_op 0
		.amdhsa_exception_fp_denorm_src 0
		.amdhsa_exception_fp_ieee_div_zero 0
		.amdhsa_exception_fp_ieee_overflow 0
		.amdhsa_exception_fp_ieee_underflow 0
		.amdhsa_exception_fp_ieee_inexact 0
		.amdhsa_exception_int_div_zero 0
	.end_amdhsa_kernel
	.text
.Lfunc_end1:
	.size	_Z17k_cube_select_twoiiiPKiPi, .Lfunc_end1-_Z17k_cube_select_twoiiiPKiPi
                                        ; -- End function
	.section	.AMDGPU.csdata,"",@progbits
; Kernel info:
; codeLenInByte = 1244
; NumSgprs: 46
; NumVgprs: 34
; NumAgprs: 0
; TotalNumVgprs: 34
; ScratchSize: 0
; MemoryBound: 0
; FloatMode: 240
; IeeeMode: 1
; LDSByteSize: 0 bytes/workgroup (compile time only)
; SGPRBlocks: 5
; VGPRBlocks: 4
; NumSGPRsForWavesPerEU: 46
; NumVGPRsForWavesPerEU: 34
; AccumOffset: 36
; Occupancy: 8
; WaveLimiterHint : 0
; COMPUTE_PGM_RSRC2:SCRATCH_EN: 0
; COMPUTE_PGM_RSRC2:USER_SGPR: 6
; COMPUTE_PGM_RSRC2:TRAP_HANDLER: 0
; COMPUTE_PGM_RSRC2:TGID_X_EN: 1
; COMPUTE_PGM_RSRC2:TGID_Y_EN: 0
; COMPUTE_PGM_RSRC2:TGID_Z_EN: 0
; COMPUTE_PGM_RSRC2:TIDIG_COMP_CNT: 0
; COMPUTE_PGM_RSRC3_GFX90A:ACCUM_OFFSET: 8
; COMPUTE_PGM_RSRC3_GFX90A:TG_SPLIT: 0
	.text
	.protected	_Z18k_cube_select_fouriiiPKiPi ; -- Begin function _Z18k_cube_select_fouriiiPKiPi
	.globl	_Z18k_cube_select_fouriiiPKiPi
	.p2align	8
	.type	_Z18k_cube_select_fouriiiPKiPi,@function
_Z18k_cube_select_fouriiiPKiPi:         ; @_Z18k_cube_select_fouriiiPKiPi
; %bb.0:
	s_load_dwordx2 s[10:11], s[4:5], 0x4
	s_add_u32 s0, s0, s9
	s_addc_u32 s1, s1, 0
	s_waitcnt lgkmcnt(0)
	v_cmp_gt_i32_e32 vcc, s10, v0
	s_and_saveexec_b64 s[6:7], vcc
	s_cbranch_execz .LBB2_18
; %bb.1:
	s_load_dwordx4 s[12:15], s[4:5], 0x10
	s_load_dword s9, s[4:5], 0x2c
	s_mul_i32 s8, s8, s10
	s_mul_i32 s6, s8, 3
	s_ashr_i32 s7, s6, 31
	s_lshl_b64 s[6:7], s[6:7], 2
	s_waitcnt lgkmcnt(0)
	s_add_u32 s26, s12, s6
	s_addc_u32 s27, s13, s7
	s_lshl_b32 s4, s8, 5
	s_ashr_i32 s5, s4, 31
	s_lshl_b64 s[4:5], s[4:5], 2
	s_add_u32 s28, s14, s4
	s_addc_u32 s29, s15, s5
	s_and_b32 s30, s9, 0xffff
	v_mov_b32_e32 v7, 0
	v_or_b32_e32 v11, 8, v7
	v_lshlrev_b32_e32 v14, 5, v0
	s_lshl_b32 s31, s30, 5
	s_mov_b64 s[8:9], 0
	v_mov_b32_e32 v15, s27
	v_mov_b32_e32 v16, s29
	;; [unrolled: 1-line block ×4, first 2 shown]
	s_mov_b32 s13, 0
	v_mov_b32_e32 v19, 0
	s_branch .LBB2_3
.LBB2_2:                                ;   in Loop: Header=BB2_3 Depth=1
	v_add_u32_e32 v0, s30, v0
	v_cmp_le_i32_e32 vcc, s10, v0
	s_or_b64 s[8:9], vcc, s[8:9]
	v_add_u32_e32 v14, s31, v14
	s_andn2_b64 exec, exec, s[8:9]
	s_cbranch_execz .LBB2_18
.LBB2_3:                                ; =>This Loop Header: Depth=1
                                        ;     Child Loop BB2_6 Depth 2
                                        ;       Child Loop BB2_17 Depth 3
	v_lshl_add_u32 v2, v0, 1, v0
	v_ashrrev_i32_e32 v3, 31, v2
	v_lshlrev_b64 v[2:3], 2, v[2:3]
	v_add_co_u32_e32 v2, vcc, s26, v2
	v_addc_co_u32_e32 v3, vcc, v15, v3, vcc
	global_load_dwordx3 v[4:6], v[2:3], off
	v_lshlrev_b32_e32 v12, 5, v0
	v_ashrrev_i32_e32 v13, 31, v12
	v_lshlrev_b64 v[2:3], 2, v[12:13]
	v_add_co_u32_e32 v8, vcc, s28, v2
	v_addc_co_u32_e32 v9, vcc, v16, v3, vcc
	v_mov_b32_e32 v1, v0
	v_mov_b32_e32 v2, v0
	;; [unrolled: 1-line block ×3, first 2 shown]
	s_mov_b32 s33, s13
	buffer_store_dword v17, off, s[0:3], 0 offset:4
	buffer_store_dword v18, off, s[0:3], 0
	buffer_store_dword v17, off, s[0:3], 0 offset:12
	buffer_store_dword v18, off, s[0:3], 0 offset:8
	global_store_dwordx4 v[8:9], v[0:3], off
	buffer_store_dword v17, off, s[0:3], 0 offset:20
	buffer_store_dword v18, off, s[0:3], 0 offset:16
	buffer_store_dword v17, off, s[0:3], 0 offset:28
	buffer_store_dword v18, off, s[0:3], 0 offset:24
	global_store_dwordx4 v[8:9], v[0:3], off offset:16
	buffer_store_dword v17, off, s[0:3], 0 offset:36
	buffer_store_dword v18, off, s[0:3], 0 offset:32
	buffer_store_dword v17, off, s[0:3], 0 offset:44
	buffer_store_dword v18, off, s[0:3], 0 offset:40
	global_store_dwordx4 v[8:9], v[0:3], off offset:32
	;; [unrolled: 5-line block ×7, first 2 shown]
	s_branch .LBB2_6
.LBB2_4:                                ;   in Loop: Header=BB2_6 Depth=2
	s_or_b64 exec, exec, s[4:5]
	v_or3_b32 v8, v2, v12, v8
	v_ashrrev_i32_e32 v9, 31, v8
	v_lshlrev_b64 v[8:9], 2, v[8:9]
	v_mov_b32_e32 v2, s29
	v_add_co_u32_e32 v8, vcc, s28, v8
	v_addc_co_u32_e32 v9, vcc, v2, v9, vcc
	v_mov_b32_e32 v2, s33
	global_store_dword v[8:9], v2, off
	buffer_store_dword v1, v3, s[0:3], 0 offen
.LBB2_5:                                ;   in Loop: Header=BB2_6 Depth=2
	s_or_b64 exec, exec, s[14:15]
	s_add_i32 s33, s33, 1
	s_cmp_eq_u32 s33, s10
	s_cbranch_scc1 .LBB2_2
.LBB2_6:                                ;   Parent Loop BB2_3 Depth=1
                                        ; =>  This Loop Header: Depth=2
                                        ;       Child Loop BB2_17 Depth 3
	v_cmp_ne_u32_e32 vcc, s33, v0
	s_and_saveexec_b64 s[14:15], vcc
	s_cbranch_execz .LBB2_5
; %bb.7:                                ;   in Loop: Header=BB2_6 Depth=2
	s_mul_i32 s12, s33, 3
	s_lshl_b64 s[4:5], s[12:13], 2
	s_add_u32 s4, s26, s4
	s_addc_u32 s5, s27, s5
	global_load_dwordx3 v[8:10], v19, s[4:5]
	s_waitcnt vmcnt(0)
	v_sub_u32_e32 v1, v4, v8
	v_sub_u32_e32 v2, v5, v9
	;; [unrolled: 1-line block ×3, first 2 shown]
	v_mul_lo_u32 v1, v1, v1
	v_mul_lo_u32 v2, v2, v2
	;; [unrolled: 1-line block ×3, first 2 shown]
	v_add3_u32 v1, v2, v1, v3
	v_cmp_ge_i32_e32 vcc, s11, v1
	s_and_b64 exec, exec, vcc
	s_cbranch_execz .LBB2_5
; %bb.8:                                ;   in Loop: Header=BB2_6 Depth=2
	v_cmp_gt_i32_e32 vcc, v8, v4
	v_cndmask_b32_e64 v2, 0, 1, vcc
	v_cmp_gt_i32_e32 vcc, v9, v5
	v_lshlrev_b32_e32 v13, 4, v2
	v_cndmask_b32_e64 v2, 0, 1, vcc
	v_cmp_lt_i32_e32 vcc, v6, v10
	v_lshlrev_b32_e32 v9, 3, v2
	v_cndmask_b32_e64 v2, 0, 1, vcc
	v_lshlrev_b32_e32 v10, 2, v2
	v_or3_b32 v2, v9, v13, v10
	v_lshl_add_u32 v3, v2, 2, v7
	buffer_load_dword v8, v3, s[0:3], 0 offen
	s_mov_b64 s[6:7], -1
	s_waitcnt vmcnt(0)
	v_cmp_lt_i32_e32 vcc, v1, v8
	v_cmp_ge_i32_e64 s[4:5], v1, v8
	v_mov_b32_e32 v8, 0
	s_and_saveexec_b64 s[16:17], s[4:5]
	s_cbranch_execz .LBB2_14
; %bb.9:                                ;   in Loop: Header=BB2_6 Depth=2
	buffer_load_dword v8, v3, s[0:3], 0 offen offset:4
	v_add_u32_e32 v20, 4, v3
	s_mov_b64 s[22:23], -1
	s_waitcnt vmcnt(0)
	v_cmp_lt_i32_e64 s[4:5], v1, v8
	v_cmp_ge_i32_e64 s[6:7], v1, v8
	v_mov_b32_e32 v8, 1
	s_and_saveexec_b64 s[18:19], s[6:7]
	s_cbranch_execz .LBB2_13
; %bb.10:                               ;   in Loop: Header=BB2_6 Depth=2
	buffer_load_dword v8, v3, s[0:3], 0 offen offset:8
	v_add_u32_e32 v20, 8, v3
	s_waitcnt vmcnt(0)
	v_cmp_lt_i32_e64 s[20:21], v1, v8
	v_cmp_ge_i32_e64 s[6:7], v1, v8
	v_mov_b32_e32 v8, 2
	s_and_saveexec_b64 s[24:25], s[6:7]
	s_xor_b64 s[24:25], exec, s[24:25]
	s_cbranch_execz .LBB2_12
; %bb.11:                               ;   in Loop: Header=BB2_6 Depth=2
	buffer_load_dword v21, v3, s[0:3], 0 offen offset:12
	s_andn2_b64 s[20:21], s[20:21], exec
	v_add_u32_e32 v20, 12, v3
	v_mov_b32_e32 v8, 3
	s_xor_b64 s[22:23], exec, -1
	s_waitcnt vmcnt(0)
	v_cmp_lt_i32_e64 s[6:7], v1, v21
	s_and_b64 s[6:7], s[6:7], exec
	s_or_b64 s[20:21], s[20:21], s[6:7]
.LBB2_12:                               ;   in Loop: Header=BB2_6 Depth=2
	s_or_b64 exec, exec, s[24:25]
	s_andn2_b64 s[4:5], s[4:5], exec
	s_and_b64 s[6:7], s[20:21], exec
	s_orn2_b64 s[22:23], s[22:23], exec
	s_or_b64 s[4:5], s[4:5], s[6:7]
.LBB2_13:                               ;   in Loop: Header=BB2_6 Depth=2
	s_or_b64 exec, exec, s[18:19]
	s_andn2_b64 s[18:19], vcc, exec
	s_and_b64 s[4:5], s[4:5], exec
	s_orn2_b64 s[6:7], s[22:23], exec
	s_or_b64 vcc, s[18:19], s[4:5]
	v_mov_b32_e32 v3, v20
.LBB2_14:                               ;   in Loop: Header=BB2_6 Depth=2
	s_or_b64 exec, exec, s[16:17]
	s_and_saveexec_b64 s[4:5], vcc
	s_xor_b64 s[4:5], exec, s[4:5]
	s_cbranch_execz .LBB2_5
; %bb.15:                               ;   in Loop: Header=BB2_6 Depth=2
	s_and_saveexec_b64 s[4:5], s[6:7]
	s_cbranch_execz .LBB2_4
; %bb.16:                               ;   in Loop: Header=BB2_6 Depth=2
	v_add_u32_e32 v13, v14, v13
	v_lshl_add_u32 v20, v2, 2, v11
	v_add3_u32 v9, v13, v9, v10
	s_mov_b32 s12, 3
	s_mov_b64 s[6:7], 0
.LBB2_17:                               ;   Parent Loop BB2_3 Depth=1
                                        ;     Parent Loop BB2_6 Depth=2
                                        ; =>    This Inner Loop Header: Depth=3
	v_add_u32_e32 v22, s12, v9
	v_ashrrev_i32_e32 v23, 31, v22
	v_lshlrev_b64 v[22:23], 2, v[22:23]
	v_mov_b32_e32 v10, s29
	v_add_co_u32_e32 v22, vcc, s28, v22
	buffer_load_dword v13, v20, s[0:3], 0 offen
	v_addc_co_u32_e32 v23, vcc, v10, v23, vcc
	global_load_dword v10, v[22:23], off offset:-4
	s_add_i32 s12, s12, -1
	v_cmp_le_u32_e32 vcc, s12, v8
	s_or_b64 s[6:7], vcc, s[6:7]
	s_waitcnt vmcnt(1)
	buffer_store_dword v13, v20, s[0:3], 0 offen offset:4
	v_add_u32_e32 v20, -4, v20
	s_waitcnt vmcnt(1)
	global_store_dword v[22:23], v10, off
	s_andn2_b64 exec, exec, s[6:7]
	s_cbranch_execnz .LBB2_17
	s_branch .LBB2_4
.LBB2_18:
	s_endpgm
	.section	.rodata,"a",@progbits
	.p2align	6, 0x0
	.amdhsa_kernel _Z18k_cube_select_fouriiiPKiPi
		.amdhsa_group_segment_fixed_size 0
		.amdhsa_private_segment_fixed_size 144
		.amdhsa_kernarg_size 288
		.amdhsa_user_sgpr_count 8
		.amdhsa_user_sgpr_private_segment_buffer 1
		.amdhsa_user_sgpr_dispatch_ptr 0
		.amdhsa_user_sgpr_queue_ptr 0
		.amdhsa_user_sgpr_kernarg_segment_ptr 1
		.amdhsa_user_sgpr_dispatch_id 0
		.amdhsa_user_sgpr_flat_scratch_init 1
		.amdhsa_user_sgpr_kernarg_preload_length 0
		.amdhsa_user_sgpr_kernarg_preload_offset 0
		.amdhsa_user_sgpr_private_segment_size 0
		.amdhsa_uses_dynamic_stack 0
		.amdhsa_system_sgpr_private_segment_wavefront_offset 1
		.amdhsa_system_sgpr_workgroup_id_x 1
		.amdhsa_system_sgpr_workgroup_id_y 0
		.amdhsa_system_sgpr_workgroup_id_z 0
		.amdhsa_system_sgpr_workgroup_info 0
		.amdhsa_system_vgpr_workitem_id 0
		.amdhsa_next_free_vgpr 24
		.amdhsa_next_free_sgpr 34
		.amdhsa_accum_offset 24
		.amdhsa_reserve_vcc 1
		.amdhsa_reserve_flat_scratch 0
		.amdhsa_float_round_mode_32 0
		.amdhsa_float_round_mode_16_64 0
		.amdhsa_float_denorm_mode_32 3
		.amdhsa_float_denorm_mode_16_64 3
		.amdhsa_dx10_clamp 1
		.amdhsa_ieee_mode 1
		.amdhsa_fp16_overflow 0
		.amdhsa_tg_split 0
		.amdhsa_exception_fp_ieee_invalid_op 0
		.amdhsa_exception_fp_denorm_src 0
		.amdhsa_exception_fp_ieee_div_zero 0
		.amdhsa_exception_fp_ieee_overflow 0
		.amdhsa_exception_fp_ieee_underflow 0
		.amdhsa_exception_fp_ieee_inexact 0
		.amdhsa_exception_int_div_zero 0
	.end_amdhsa_kernel
	.text
.Lfunc_end2:
	.size	_Z18k_cube_select_fouriiiPKiPi, .Lfunc_end2-_Z18k_cube_select_fouriiiPKiPi
                                        ; -- End function
	.section	.AMDGPU.csdata,"",@progbits
; Kernel info:
; codeLenInByte = 1184
; NumSgprs: 38
; NumVgprs: 24
; NumAgprs: 0
; TotalNumVgprs: 24
; ScratchSize: 144
; MemoryBound: 0
; FloatMode: 240
; IeeeMode: 1
; LDSByteSize: 0 bytes/workgroup (compile time only)
; SGPRBlocks: 4
; VGPRBlocks: 2
; NumSGPRsForWavesPerEU: 38
; NumVGPRsForWavesPerEU: 24
; AccumOffset: 24
; Occupancy: 8
; WaveLimiterHint : 0
; COMPUTE_PGM_RSRC2:SCRATCH_EN: 1
; COMPUTE_PGM_RSRC2:USER_SGPR: 8
; COMPUTE_PGM_RSRC2:TRAP_HANDLER: 0
; COMPUTE_PGM_RSRC2:TGID_X_EN: 1
; COMPUTE_PGM_RSRC2:TGID_Y_EN: 0
; COMPUTE_PGM_RSRC2:TGID_Z_EN: 0
; COMPUTE_PGM_RSRC2:TIDIG_COMP_CNT: 0
; COMPUTE_PGM_RSRC3_GFX90A:ACCUM_OFFSET: 5
; COMPUTE_PGM_RSRC3_GFX90A:TG_SPLIT: 0
	.text
	.p2alignl 6, 3212836864
	.fill 256, 4, 3212836864
	.type	__hip_cuid_46b1085458aebb7d,@object ; @__hip_cuid_46b1085458aebb7d
	.section	.bss,"aw",@nobits
	.globl	__hip_cuid_46b1085458aebb7d
__hip_cuid_46b1085458aebb7d:
	.byte	0                               ; 0x0
	.size	__hip_cuid_46b1085458aebb7d, 1

	.ident	"AMD clang version 19.0.0git (https://github.com/RadeonOpenCompute/llvm-project roc-6.4.0 25133 c7fe45cf4b819c5991fe208aaa96edf142730f1d)"
	.section	".note.GNU-stack","",@progbits
	.addrsig
	.addrsig_sym __hip_cuid_46b1085458aebb7d
	.amdgpu_metadata
---
amdhsa.kernels:
  - .agpr_count:     0
    .args:
      - .offset:         0
        .size:           4
        .value_kind:     by_value
      - .offset:         4
        .size:           4
        .value_kind:     by_value
      - .offset:         8
        .size:           4
        .value_kind:     by_value
      - .address_space:  global
        .offset:         16
        .size:           8
        .value_kind:     global_buffer
      - .address_space:  global
        .offset:         24
        .size:           8
        .value_kind:     global_buffer
      - .offset:         32
        .size:           4
        .value_kind:     hidden_block_count_x
      - .offset:         36
        .size:           4
        .value_kind:     hidden_block_count_y
      - .offset:         40
        .size:           4
        .value_kind:     hidden_block_count_z
      - .offset:         44
        .size:           2
        .value_kind:     hidden_group_size_x
      - .offset:         46
        .size:           2
        .value_kind:     hidden_group_size_y
      - .offset:         48
        .size:           2
        .value_kind:     hidden_group_size_z
      - .offset:         50
        .size:           2
        .value_kind:     hidden_remainder_x
      - .offset:         52
        .size:           2
        .value_kind:     hidden_remainder_y
      - .offset:         54
        .size:           2
        .value_kind:     hidden_remainder_z
      - .offset:         72
        .size:           8
        .value_kind:     hidden_global_offset_x
      - .offset:         80
        .size:           8
        .value_kind:     hidden_global_offset_y
      - .offset:         88
        .size:           8
        .value_kind:     hidden_global_offset_z
      - .offset:         96
        .size:           2
        .value_kind:     hidden_grid_dims
    .group_segment_fixed_size: 0
    .kernarg_segment_align: 8
    .kernarg_segment_size: 288
    .language:       OpenCL C
    .language_version:
      - 2
      - 0
    .max_flat_workgroup_size: 1024
    .name:           _Z13k_cube_selectiiiPKiPi
    .private_segment_fixed_size: 0
    .sgpr_count:     29
    .sgpr_spill_count: 0
    .symbol:         _Z13k_cube_selectiiiPKiPi.kd
    .uniform_work_group_size: 1
    .uses_dynamic_stack: false
    .vgpr_count:     22
    .vgpr_spill_count: 0
    .wavefront_size: 64
  - .agpr_count:     0
    .args:
      - .offset:         0
        .size:           4
        .value_kind:     by_value
      - .offset:         4
        .size:           4
        .value_kind:     by_value
      - .offset:         8
        .size:           4
        .value_kind:     by_value
      - .address_space:  global
        .offset:         16
        .size:           8
        .value_kind:     global_buffer
      - .address_space:  global
        .offset:         24
        .size:           8
        .value_kind:     global_buffer
      - .offset:         32
        .size:           4
        .value_kind:     hidden_block_count_x
      - .offset:         36
        .size:           4
        .value_kind:     hidden_block_count_y
      - .offset:         40
        .size:           4
        .value_kind:     hidden_block_count_z
      - .offset:         44
        .size:           2
        .value_kind:     hidden_group_size_x
      - .offset:         46
        .size:           2
        .value_kind:     hidden_group_size_y
      - .offset:         48
        .size:           2
        .value_kind:     hidden_group_size_z
      - .offset:         50
        .size:           2
        .value_kind:     hidden_remainder_x
      - .offset:         52
        .size:           2
        .value_kind:     hidden_remainder_y
      - .offset:         54
        .size:           2
        .value_kind:     hidden_remainder_z
      - .offset:         72
        .size:           8
        .value_kind:     hidden_global_offset_x
      - .offset:         80
        .size:           8
        .value_kind:     hidden_global_offset_y
      - .offset:         88
        .size:           8
        .value_kind:     hidden_global_offset_z
      - .offset:         96
        .size:           2
        .value_kind:     hidden_grid_dims
    .group_segment_fixed_size: 0
    .kernarg_segment_align: 8
    .kernarg_segment_size: 288
    .language:       OpenCL C
    .language_version:
      - 2
      - 0
    .max_flat_workgroup_size: 1024
    .name:           _Z17k_cube_select_twoiiiPKiPi
    .private_segment_fixed_size: 0
    .sgpr_count:     46
    .sgpr_spill_count: 0
    .symbol:         _Z17k_cube_select_twoiiiPKiPi.kd
    .uniform_work_group_size: 1
    .uses_dynamic_stack: false
    .vgpr_count:     34
    .vgpr_spill_count: 0
    .wavefront_size: 64
  - .agpr_count:     0
    .args:
      - .offset:         0
        .size:           4
        .value_kind:     by_value
      - .offset:         4
        .size:           4
        .value_kind:     by_value
      - .offset:         8
        .size:           4
        .value_kind:     by_value
      - .address_space:  global
        .offset:         16
        .size:           8
        .value_kind:     global_buffer
      - .address_space:  global
        .offset:         24
        .size:           8
        .value_kind:     global_buffer
      - .offset:         32
        .size:           4
        .value_kind:     hidden_block_count_x
      - .offset:         36
        .size:           4
        .value_kind:     hidden_block_count_y
      - .offset:         40
        .size:           4
        .value_kind:     hidden_block_count_z
      - .offset:         44
        .size:           2
        .value_kind:     hidden_group_size_x
      - .offset:         46
        .size:           2
        .value_kind:     hidden_group_size_y
      - .offset:         48
        .size:           2
        .value_kind:     hidden_group_size_z
      - .offset:         50
        .size:           2
        .value_kind:     hidden_remainder_x
      - .offset:         52
        .size:           2
        .value_kind:     hidden_remainder_y
      - .offset:         54
        .size:           2
        .value_kind:     hidden_remainder_z
      - .offset:         72
        .size:           8
        .value_kind:     hidden_global_offset_x
      - .offset:         80
        .size:           8
        .value_kind:     hidden_global_offset_y
      - .offset:         88
        .size:           8
        .value_kind:     hidden_global_offset_z
      - .offset:         96
        .size:           2
        .value_kind:     hidden_grid_dims
    .group_segment_fixed_size: 0
    .kernarg_segment_align: 8
    .kernarg_segment_size: 288
    .language:       OpenCL C
    .language_version:
      - 2
      - 0
    .max_flat_workgroup_size: 1024
    .name:           _Z18k_cube_select_fouriiiPKiPi
    .private_segment_fixed_size: 144
    .sgpr_count:     38
    .sgpr_spill_count: 0
    .symbol:         _Z18k_cube_select_fouriiiPKiPi.kd
    .uniform_work_group_size: 1
    .uses_dynamic_stack: false
    .vgpr_count:     24
    .vgpr_spill_count: 0
    .wavefront_size: 64
amdhsa.target:   amdgcn-amd-amdhsa--gfx90a
amdhsa.version:
  - 1
  - 2
...

	.end_amdgpu_metadata
